;; amdgpu-corpus repo=zjin-lcf/HeCBench kind=compiled arch=gfx1100 opt=O3
	.text
	.amdgcn_target "amdgcn-amd-amdhsa--gfx1100"
	.amdhsa_code_object_version 6
	.protected	_Z3lbmPKdPdPK15HIP_vector_typeIdLj4EEPS3_S5_S6_PKb7double8S9_S0_d ; -- Begin function _Z3lbmPKdPdPK15HIP_vector_typeIdLj4EEPS3_S5_S6_PKb7double8S9_S0_d
	.globl	_Z3lbmPKdPdPK15HIP_vector_typeIdLj4EEPS3_S5_S6_PKb7double8S9_S0_d
	.p2align	8
	.type	_Z3lbmPKdPdPK15HIP_vector_typeIdLj4EEPS3_S5_S6_PKb7double8S9_S0_d,@function
_Z3lbmPKdPdPK15HIP_vector_typeIdLj4EEPS3_S5_S6_PKb7double8S9_S0_d: ; @_Z3lbmPKdPdPK15HIP_vector_typeIdLj4EEPS3_S5_S6_PKb7double8S9_S0_d
; %bb.0:
	s_clause 0x2
	s_load_b32 s6, s[0:1], 0xdc
	s_load_b64 s[2:3], s[0:1], 0xd0
	s_load_b64 s[4:5], s[0:1], 0x30
	v_and_b32_e32 v1, 0x3ff, v0
	v_bfe_u32 v0, v0, 10, 10
	s_load_b64 s[10:11], s[0:1], 0x20
	s_waitcnt lgkmcnt(0)
	s_and_b32 s8, s6, 0xffff
	s_lshr_b32 s25, s6, 16
	v_mad_u64_u32 v[16:17], null, s14, s8, v[1:2]
	v_mad_u64_u32 v[17:18], null, s15, s25, v[0:1]
	s_mul_i32 s24, s2, s8
	s_clause 0x1
	s_load_b64 s[6:7], s[0:1], 0x0
	s_load_b64 s[8:9], s[0:1], 0x10
	s_delay_alu instid0(VALU_DEP_1) | instskip(SKIP_3) | instid1(VALU_DEP_1)
	v_mad_u64_u32 v[0:1], null, v17, s24, v[16:17]
	global_load_u8 v22, v0, s[4:5]
	s_waitcnt vmcnt(0)
	v_dual_mov_b32 v1, 0 :: v_dual_and_b32 v22, 1, v22
	v_lshlrev_b64 v[18:19], 3, v[0:1]
	v_lshlrev_b64 v[1:2], 5, v[0:1]
	s_waitcnt lgkmcnt(0)
	s_delay_alu instid0(VALU_DEP_2) | instskip(NEXT) | instid1(VALU_DEP_3)
	v_add_co_u32 v3, vcc_lo, s6, v18
	v_add_co_ci_u32_e32 v4, vcc_lo, s7, v19, vcc_lo
	s_delay_alu instid0(VALU_DEP_3) | instskip(NEXT) | instid1(VALU_DEP_4)
	v_add_co_u32 v5, vcc_lo, s8, v1
	v_add_co_ci_u32_e32 v6, vcc_lo, s9, v2, vcc_lo
	v_add_co_u32 v0, vcc_lo, s10, v1
	v_add_co_ci_u32_e32 v1, vcc_lo, s11, v2, vcc_lo
	global_load_b64 v[20:21], v[3:4], off
	s_clause 0x1
	global_load_b128 v[12:15], v[5:6], off offset:16
	global_load_b128 v[4:7], v[5:6], off
	s_clause 0x1
	global_load_b128 v[8:11], v[0:1], off offset:16
	global_load_b128 v[0:3], v[0:1], off
	s_clause 0x1
	s_load_b512 s[8:23], s[0:1], 0x40
	s_load_b512 s[36:51], s[0:1], 0x80
	v_cmp_eq_u32_e32 vcc_lo, 1, v22
	s_xor_b32 s2, vcc_lo, -1
	s_delay_alu instid0(SALU_CYCLE_1) | instskip(NEXT) | instid1(SALU_CYCLE_1)
	s_and_saveexec_b32 s4, s2
	s_xor_b32 s26, exec_lo, s4
	s_cbranch_execz .LBB0_2
; %bb.1:
	s_waitcnt vmcnt(0)
	v_add_f64 v[22:23], v[4:5], v[0:1]
	v_add_f64 v[24:25], v[6:7], v[2:3]
	s_waitcnt lgkmcnt(0)
	v_mul_f64 v[26:27], s[10:11], v[6:7]
	v_mul_f64 v[28:29], s[14:15], v[14:15]
	;; [unrolled: 1-line block ×8, first 2 shown]
	v_add_f64 v[42:43], v[12:13], v[8:9]
	s_load_b128 s[4:7], s[0:1], 0xc0
	s_waitcnt lgkmcnt(0)
	s_clause 0x1
	s_load_b512 s[52:67], s[4:5], 0x0
	s_load_b64 s[4:5], s[4:5], 0x40
	v_add_f64 v[22:23], v[20:21], v[22:23]
	v_fma_f64 v[26:27], s[8:9], v[4:5], v[26:27]
	v_fma_f64 v[28:29], s[12:13], v[12:13], v[28:29]
	;; [unrolled: 1-line block ×5, first 2 shown]
	v_add_f64 v[22:23], v[24:25], v[22:23]
	v_fma_f64 v[24:25], s[40:41], v[12:13], v[36:37]
	v_fma_f64 v[36:37], s[44:45], v[0:1], v[38:39]
	;; [unrolled: 1-line block ×3, first 2 shown]
	v_add_f64 v[40:41], v[14:15], v[10:11]
	v_add_f64 v[26:27], v[26:27], v[28:29]
	;; [unrolled: 1-line block ×6, first 2 shown]
	s_delay_alu instid0(VALU_DEP_4) | instskip(NEXT) | instid1(VALU_DEP_4)
	v_add_f64 v[26:27], v[26:27], v[28:29]
	v_add_f64 v[22:23], v[40:41], v[22:23]
	s_delay_alu instid0(VALU_DEP_3) | instskip(NEXT) | instid1(VALU_DEP_2)
	v_add_f64 v[24:25], v[24:25], v[30:31]
	v_div_scale_f64 v[28:29], null, v[22:23], v[22:23], v[26:27]
	v_div_scale_f64 v[40:41], vcc_lo, v[26:27], v[22:23], v[26:27]
	s_delay_alu instid0(VALU_DEP_3) | instskip(NEXT) | instid1(VALU_DEP_3)
	v_div_scale_f64 v[30:31], null, v[22:23], v[22:23], v[24:25]
	v_rcp_f64_e32 v[32:33], v[28:29]
	s_delay_alu instid0(VALU_DEP_1) | instskip(SKIP_3) | instid1(VALU_DEP_2)
	v_rcp_f64_e32 v[34:35], v[30:31]
	s_waitcnt_depctr 0xfff
	v_fma_f64 v[36:37], -v[28:29], v[32:33], 1.0
	v_fma_f64 v[38:39], -v[30:31], v[34:35], 1.0
	v_fma_f64 v[32:33], v[32:33], v[36:37], v[32:33]
	s_delay_alu instid0(VALU_DEP_2) | instskip(NEXT) | instid1(VALU_DEP_2)
	v_fma_f64 v[34:35], v[34:35], v[38:39], v[34:35]
	v_fma_f64 v[36:37], -v[28:29], v[32:33], 1.0
	s_delay_alu instid0(VALU_DEP_2) | instskip(NEXT) | instid1(VALU_DEP_2)
	v_fma_f64 v[38:39], -v[30:31], v[34:35], 1.0
	v_fma_f64 v[32:33], v[32:33], v[36:37], v[32:33]
	v_div_scale_f64 v[36:37], s2, v[24:25], v[22:23], v[24:25]
	s_delay_alu instid0(VALU_DEP_3) | instskip(NEXT) | instid1(VALU_DEP_3)
	v_fma_f64 v[34:35], v[34:35], v[38:39], v[34:35]
	v_mul_f64 v[38:39], v[40:41], v[32:33]
	s_delay_alu instid0(VALU_DEP_2) | instskip(NEXT) | instid1(VALU_DEP_2)
	v_mul_f64 v[42:43], v[36:37], v[34:35]
	v_fma_f64 v[28:29], -v[28:29], v[38:39], v[40:41]
	s_delay_alu instid0(VALU_DEP_2) | instskip(NEXT) | instid1(VALU_DEP_2)
	v_fma_f64 v[30:31], -v[30:31], v[42:43], v[36:37]
	v_div_fmas_f64 v[28:29], v[28:29], v[32:33], v[38:39]
	s_mov_b32 vcc_lo, s2
	s_delay_alu instid0(VALU_DEP_2) | instskip(NEXT) | instid1(VALU_DEP_2)
	v_div_fmas_f64 v[30:31], v[30:31], v[34:35], v[42:43]
	v_div_fixup_f64 v[26:27], v[28:29], v[22:23], v[26:27]
	s_delay_alu instid0(VALU_DEP_2) | instskip(NEXT) | instid1(VALU_DEP_1)
	v_div_fixup_f64 v[24:25], v[30:31], v[22:23], v[24:25]
	v_mul_f64 v[30:31], s[36:37], v[24:25]
	v_mul_f64 v[32:33], s[38:39], v[24:25]
	;; [unrolled: 1-line block ×10, first 2 shown]
	v_fma_f64 v[30:31], s[8:9], v[26:27], v[30:31]
	v_fma_f64 v[32:33], s[10:11], v[26:27], v[32:33]
	;; [unrolled: 1-line block ×10, first 2 shown]
	v_fma_f64 v[50:51], 0x40080000, v[30:31], 1.0
	v_mul_f64 v[52:53], 0x40120000, v[30:31]
	v_fma_f64 v[54:55], 0x40080000, v[32:33], 1.0
	v_mul_f64 v[56:57], 0x40120000, v[32:33]
	v_fma_f64 v[64:65], 0x40080000, v[38:39], 1.0
	v_fma_f64 v[66:67], 0x40080000, v[40:41], 1.0
	v_mul_f64 v[68:69], 0x40120000, v[40:41]
	v_mul_f64 v[70:71], 0x40120000, v[38:39]
	v_fma_f64 v[46:47], 0x40080000, v[28:29], 1.0
	v_mul_f64 v[48:49], 0x40120000, v[28:29]
	v_fma_f64 v[58:59], 0x40080000, v[34:35], 1.0
	;; [unrolled: 2-line block ×5, first 2 shown]
	v_mul_f64 v[80:81], 0x40120000, v[44:45]
	v_fma_f64 v[30:31], v[30:31], v[52:53], v[50:51]
	s_waitcnt lgkmcnt(0)
	v_mul_f64 v[50:51], v[22:23], s[58:59]
	v_fma_f64 v[26:27], v[32:33], v[56:57], v[54:55]
	v_mul_f64 v[54:55], v[22:23], s[62:63]
	v_mul_f64 v[56:57], v[22:23], s[64:65]
	v_fma_f64 v[32:33], v[40:41], v[68:69], v[66:67]
	v_fma_f64 v[38:39], v[38:39], v[70:71], v[64:65]
	v_mul_f64 v[52:53], v[22:23], s[60:61]
	v_fma_f64 v[28:29], v[28:29], v[48:49], v[46:47]
	v_mul_f64 v[46:47], v[22:23], s[54:55]
	;; [unrolled: 2-line block ×4, first 2 shown]
	v_fma_f64 v[40:41], v[42:43], v[76:77], v[74:75]
	v_fma_f64 v[42:43], v[44:45], v[80:81], v[78:79]
	v_mul_f64 v[44:45], v[22:23], s[52:53]
	v_mul_f64 v[22:23], v[22:23], s[4:5]
	v_fma_f64 v[30:31], 0xbff80000, v[24:25], v[30:31]
	v_fma_f64 v[26:27], 0xbff80000, v[24:25], v[26:27]
	;; [unrolled: 1-line block ×9, first 2 shown]
	v_mul_f64 v[30:31], v[30:31], v[46:47]
	v_mul_f64 v[26:27], v[26:27], v[48:49]
	;; [unrolled: 1-line block ×9, first 2 shown]
	v_add_f64 v[24:25], -s[6:7], 1.0
	v_mul_f64 v[30:31], v[30:31], s[6:7]
	v_mul_f64 v[26:27], v[26:27], s[6:7]
	;; [unrolled: 1-line block ×9, first 2 shown]
	v_fma_f64 v[30:31], v[24:25], v[4:5], v[30:31]
	v_fma_f64 v[26:27], v[24:25], v[6:7], v[26:27]
	;; [unrolled: 1-line block ×9, first 2 shown]
	v_dual_mov_b32 v12, v30 :: v_dual_mov_b32 v13, v31
	v_dual_mov_b32 v14, v26 :: v_dual_mov_b32 v15, v27
	;; [unrolled: 1-line block ×4, first 2 shown]
.LBB0_2:
	s_and_not1_saveexec_b32 s2, s26
	s_delay_alu instid0(SALU_CYCLE_1)
	s_or_b32 exec_lo, exec_lo, s2
	s_mul_i32 s2, s3, s25
	s_add_i32 s3, s24, -1
	s_add_i32 s2, s2, -1
	v_cmp_gt_u32_e32 vcc_lo, s3, v16
	v_cmp_gt_u32_e64 s2, s2, v17
	v_cmp_ne_u32_e64 s3, 0, v16
	v_cmp_ne_u32_e64 s4, 0, v17
	s_delay_alu instid0(VALU_DEP_3)
	s_and_b32 s2, vcc_lo, s2
	s_delay_alu instid0(VALU_DEP_2) | instid1(SALU_CYCLE_1)
	s_and_b32 s2, s3, s2
	s_delay_alu instid0(VALU_DEP_1) | instid1(SALU_CYCLE_1)
	s_and_b32 s2, s4, s2
	s_delay_alu instid0(SALU_CYCLE_1)
	s_and_saveexec_b32 s3, s2
	s_cbranch_execz .LBB0_4
; %bb.3:
	s_waitcnt lgkmcnt(0)
	v_cvt_i32_f64_e32 v22, s[36:37]
	v_cvt_i32_f64_e32 v23, s[38:39]
	;; [unrolled: 1-line block ×8, first 2 shown]
	s_load_b64 s[4:5], s[0:1], 0x8
	v_cvt_i32_f64_e32 v30, s[8:9]
	v_cvt_i32_f64_e32 v31, s[10:11]
	;; [unrolled: 1-line block ×8, first 2 shown]
	s_clause 0x1
	s_load_b64 s[2:3], s[0:1], 0x18
	s_load_b64 s[0:1], s[0:1], 0x28
	s_waitcnt lgkmcnt(0)
	v_add_co_u32 v18, vcc_lo, s4, v18
	v_add_co_ci_u32_e32 v19, vcc_lo, s5, v19, vcc_lo
	s_waitcnt vmcnt(4)
	global_store_b64 v[18:19], v[20:21], off
	v_add_nc_u32_e32 v18, v17, v22
	v_add_nc_u32_e32 v19, v17, v23
	v_add_nc_u32_e32 v20, v17, v24
	v_add_nc_u32_e32 v21, v17, v25
	v_add_nc_u32_e32 v22, v17, v26
	v_mul_lo_u32 v18, v18, s24
	v_add_nc_u32_e32 v23, v17, v27
	v_add_nc_u32_e32 v24, v17, v28
	;; [unrolled: 1-line block ×3, first 2 shown]
	v_mul_lo_u32 v19, v19, s24
	v_mul_lo_u32 v20, v20, s24
	;; [unrolled: 1-line block ×5, first 2 shown]
	v_add3_u32 v17, v16, v30, v18
	v_mul_lo_u32 v24, v24, s24
	v_mul_lo_u32 v26, v23, s24
	v_add3_u32 v19, v16, v31, v19
	v_add3_u32 v21, v16, v32, v20
	v_ashrrev_i32_e32 v18, 31, v17
	v_add3_u32 v23, v16, v33, v25
	v_add3_u32 v25, v16, v34, v22
	v_ashrrev_i32_e32 v20, 31, v19
	v_ashrrev_i32_e32 v22, 31, v21
	v_lshlrev_b64 v[17:18], 5, v[17:18]
	v_add3_u32 v29, v16, v36, v24
	v_ashrrev_i32_e32 v24, 31, v23
	v_lshlrev_b64 v[19:20], 5, v[19:20]
	v_add3_u32 v27, v16, v35, v26
	v_lshlrev_b64 v[21:22], 5, v[21:22]
	v_add_co_u32 v31, vcc_lo, s2, v17
	v_ashrrev_i32_e32 v26, 31, v25
	v_add_co_ci_u32_e32 v32, vcc_lo, s3, v18, vcc_lo
	v_lshlrev_b64 v[23:24], 5, v[23:24]
	v_add_co_u32 v18, vcc_lo, s2, v19
	v_add3_u32 v16, v16, v37, v28
	v_ashrrev_i32_e32 v28, 31, v27
	v_add_co_ci_u32_e32 v19, vcc_lo, s3, v20, vcc_lo
	v_add_co_u32 v20, vcc_lo, s2, v21
	v_lshlrev_b64 v[25:26], 5, v[25:26]
	v_ashrrev_i32_e32 v30, 31, v29
	v_add_co_ci_u32_e32 v21, vcc_lo, s3, v22, vcc_lo
	v_add_co_u32 v22, vcc_lo, s2, v23
	v_lshlrev_b64 v[27:28], 5, v[27:28]
	;; [unrolled: 4-line block ×3, first 2 shown]
	v_add_co_ci_u32_e32 v25, vcc_lo, s1, v26, vcc_lo
	v_add_co_u32 v26, vcc_lo, s0, v27
	v_lshlrev_b64 v[16:17], 5, v[16:17]
	v_add_co_ci_u32_e32 v27, vcc_lo, s1, v28, vcc_lo
	v_add_co_u32 v28, vcc_lo, s0, v29
	v_add_co_ci_u32_e32 v29, vcc_lo, s1, v30, vcc_lo
	s_delay_alu instid0(VALU_DEP_4)
	v_add_co_u32 v16, vcc_lo, s0, v16
	v_add_co_ci_u32_e32 v17, vcc_lo, s1, v17, vcc_lo
	s_waitcnt vmcnt(3)
	s_clause 0x1
	global_store_b64 v[31:32], v[12:13], off
	global_store_b64 v[18:19], v[14:15], off offset:8
	s_waitcnt vmcnt(2)
	s_clause 0x1
	global_store_b64 v[20:21], v[4:5], off offset:16
	global_store_b64 v[22:23], v[6:7], off offset:24
	s_waitcnt vmcnt(1)
	s_clause 0x1
	global_store_b64 v[24:25], v[8:9], off
	global_store_b64 v[26:27], v[10:11], off offset:8
	s_waitcnt vmcnt(0)
	s_clause 0x1
	global_store_b64 v[28:29], v[0:1], off offset:16
	global_store_b64 v[16:17], v[2:3], off offset:24
.LBB0_4:
	s_nop 0
	s_sendmsg sendmsg(MSG_DEALLOC_VGPRS)
	s_endpgm
	.section	.rodata,"a",@progbits
	.p2align	6, 0x0
	.amdhsa_kernel _Z3lbmPKdPdPK15HIP_vector_typeIdLj4EEPS3_S5_S6_PKb7double8S9_S0_d
		.amdhsa_group_segment_fixed_size 0
		.amdhsa_private_segment_fixed_size 0
		.amdhsa_kernarg_size 464
		.amdhsa_user_sgpr_count 14
		.amdhsa_user_sgpr_dispatch_ptr 0
		.amdhsa_user_sgpr_queue_ptr 0
		.amdhsa_user_sgpr_kernarg_segment_ptr 1
		.amdhsa_user_sgpr_dispatch_id 0
		.amdhsa_user_sgpr_private_segment_size 0
		.amdhsa_wavefront_size32 1
		.amdhsa_uses_dynamic_stack 0
		.amdhsa_enable_private_segment 0
		.amdhsa_system_sgpr_workgroup_id_x 1
		.amdhsa_system_sgpr_workgroup_id_y 1
		.amdhsa_system_sgpr_workgroup_id_z 0
		.amdhsa_system_sgpr_workgroup_info 0
		.amdhsa_system_vgpr_workitem_id 1
		.amdhsa_next_free_vgpr 82
		.amdhsa_next_free_sgpr 68
		.amdhsa_reserve_vcc 1
		.amdhsa_float_round_mode_32 0
		.amdhsa_float_round_mode_16_64 0
		.amdhsa_float_denorm_mode_32 3
		.amdhsa_float_denorm_mode_16_64 3
		.amdhsa_dx10_clamp 1
		.amdhsa_ieee_mode 1
		.amdhsa_fp16_overflow 0
		.amdhsa_workgroup_processor_mode 1
		.amdhsa_memory_ordered 1
		.amdhsa_forward_progress 0
		.amdhsa_shared_vgpr_count 0
		.amdhsa_exception_fp_ieee_invalid_op 0
		.amdhsa_exception_fp_denorm_src 0
		.amdhsa_exception_fp_ieee_div_zero 0
		.amdhsa_exception_fp_ieee_overflow 0
		.amdhsa_exception_fp_ieee_underflow 0
		.amdhsa_exception_fp_ieee_inexact 0
		.amdhsa_exception_int_div_zero 0
	.end_amdhsa_kernel
	.text
.Lfunc_end0:
	.size	_Z3lbmPKdPdPK15HIP_vector_typeIdLj4EEPS3_S5_S6_PKb7double8S9_S0_d, .Lfunc_end0-_Z3lbmPKdPdPK15HIP_vector_typeIdLj4EEPS3_S5_S6_PKb7double8S9_S0_d
                                        ; -- End function
	.section	.AMDGPU.csdata,"",@progbits
; Kernel info:
; codeLenInByte = 2360
; NumSgprs: 70
; NumVgprs: 82
; ScratchSize: 0
; MemoryBound: 0
; FloatMode: 240
; IeeeMode: 1
; LDSByteSize: 0 bytes/workgroup (compile time only)
; SGPRBlocks: 8
; VGPRBlocks: 10
; NumSGPRsForWavesPerEU: 70
; NumVGPRsForWavesPerEU: 82
; Occupancy: 16
; WaveLimiterHint : 0
; COMPUTE_PGM_RSRC2:SCRATCH_EN: 0
; COMPUTE_PGM_RSRC2:USER_SGPR: 14
; COMPUTE_PGM_RSRC2:TRAP_HANDLER: 0
; COMPUTE_PGM_RSRC2:TGID_X_EN: 1
; COMPUTE_PGM_RSRC2:TGID_Y_EN: 1
; COMPUTE_PGM_RSRC2:TGID_Z_EN: 0
; COMPUTE_PGM_RSRC2:TIDIG_COMP_CNT: 1
	.text
	.p2alignl 7, 3214868480
	.fill 96, 4, 3214868480
	.type	__hip_cuid_9007ce3d70d7dbc1,@object ; @__hip_cuid_9007ce3d70d7dbc1
	.section	.bss,"aw",@nobits
	.globl	__hip_cuid_9007ce3d70d7dbc1
__hip_cuid_9007ce3d70d7dbc1:
	.byte	0                               ; 0x0
	.size	__hip_cuid_9007ce3d70d7dbc1, 1

	.ident	"AMD clang version 19.0.0git (https://github.com/RadeonOpenCompute/llvm-project roc-6.4.0 25133 c7fe45cf4b819c5991fe208aaa96edf142730f1d)"
	.section	".note.GNU-stack","",@progbits
	.addrsig
	.addrsig_sym __hip_cuid_9007ce3d70d7dbc1
	.amdgpu_metadata
---
amdhsa.kernels:
  - .args:
      - .actual_access:  read_only
        .address_space:  global
        .offset:         0
        .size:           8
        .value_kind:     global_buffer
      - .actual_access:  write_only
        .address_space:  global
        .offset:         8
        .size:           8
        .value_kind:     global_buffer
      - .actual_access:  read_only
        .address_space:  global
        .offset:         16
        .size:           8
        .value_kind:     global_buffer
      - .actual_access:  write_only
        .address_space:  global
        .offset:         24
        .size:           8
        .value_kind:     global_buffer
      - .actual_access:  read_only
        .address_space:  global
        .offset:         32
        .size:           8
        .value_kind:     global_buffer
      - .actual_access:  write_only
        .address_space:  global
        .offset:         40
        .size:           8
        .value_kind:     global_buffer
      - .actual_access:  read_only
        .address_space:  global
        .offset:         48
        .size:           8
        .value_kind:     global_buffer
      - .offset:         64
        .size:           64
        .value_kind:     by_value
      - .offset:         128
        .size:           64
        .value_kind:     by_value
      - .actual_access:  read_only
        .address_space:  global
        .offset:         192
        .size:           8
        .value_kind:     global_buffer
      - .offset:         200
        .size:           8
        .value_kind:     by_value
      - .offset:         208
        .size:           4
        .value_kind:     hidden_block_count_x
      - .offset:         212
        .size:           4
        .value_kind:     hidden_block_count_y
      - .offset:         216
        .size:           4
        .value_kind:     hidden_block_count_z
      - .offset:         220
        .size:           2
        .value_kind:     hidden_group_size_x
      - .offset:         222
        .size:           2
        .value_kind:     hidden_group_size_y
      - .offset:         224
        .size:           2
        .value_kind:     hidden_group_size_z
      - .offset:         226
        .size:           2
        .value_kind:     hidden_remainder_x
      - .offset:         228
        .size:           2
        .value_kind:     hidden_remainder_y
      - .offset:         230
        .size:           2
        .value_kind:     hidden_remainder_z
      - .offset:         248
        .size:           8
        .value_kind:     hidden_global_offset_x
      - .offset:         256
        .size:           8
        .value_kind:     hidden_global_offset_y
      - .offset:         264
        .size:           8
        .value_kind:     hidden_global_offset_z
      - .offset:         272
        .size:           2
        .value_kind:     hidden_grid_dims
    .group_segment_fixed_size: 0
    .kernarg_segment_align: 64
    .kernarg_segment_size: 464
    .language:       OpenCL C
    .language_version:
      - 2
      - 0
    .max_flat_workgroup_size: 1024
    .name:           _Z3lbmPKdPdPK15HIP_vector_typeIdLj4EEPS3_S5_S6_PKb7double8S9_S0_d
    .private_segment_fixed_size: 0
    .sgpr_count:     70
    .sgpr_spill_count: 0
    .symbol:         _Z3lbmPKdPdPK15HIP_vector_typeIdLj4EEPS3_S5_S6_PKb7double8S9_S0_d.kd
    .uniform_work_group_size: 1
    .uses_dynamic_stack: false
    .vgpr_count:     82
    .vgpr_spill_count: 0
    .wavefront_size: 32
    .workgroup_processor_mode: 1
amdhsa.target:   amdgcn-amd-amdhsa--gfx1100
amdhsa.version:
  - 1
  - 2
...

	.end_amdgpu_metadata
